;; amdgpu-corpus repo=ROCm/rocFFT kind=compiled arch=gfx906 opt=O3
	.text
	.amdgcn_target "amdgcn-amd-amdhsa--gfx906"
	.amdhsa_code_object_version 6
	.protected	fft_rtc_back_len1820_factors_10_13_7_2_wgs_182_tpt_182_halfLds_half_ip_CI_unitstride_sbrr_dirReg ; -- Begin function fft_rtc_back_len1820_factors_10_13_7_2_wgs_182_tpt_182_halfLds_half_ip_CI_unitstride_sbrr_dirReg
	.globl	fft_rtc_back_len1820_factors_10_13_7_2_wgs_182_tpt_182_halfLds_half_ip_CI_unitstride_sbrr_dirReg
	.p2align	8
	.type	fft_rtc_back_len1820_factors_10_13_7_2_wgs_182_tpt_182_halfLds_half_ip_CI_unitstride_sbrr_dirReg,@function
fft_rtc_back_len1820_factors_10_13_7_2_wgs_182_tpt_182_halfLds_half_ip_CI_unitstride_sbrr_dirReg: ; @fft_rtc_back_len1820_factors_10_13_7_2_wgs_182_tpt_182_halfLds_half_ip_CI_unitstride_sbrr_dirReg
; %bb.0:
	s_load_dwordx2 s[12:13], s[4:5], 0x50
	s_load_dwordx4 s[8:11], s[4:5], 0x0
	s_load_dwordx2 s[2:3], s[4:5], 0x18
	v_mul_u32_u24_e32 v1, 0x169, v0
	v_add_u32_sdwa v5, s6, v1 dst_sel:DWORD dst_unused:UNUSED_PAD src0_sel:DWORD src1_sel:WORD_1
	v_mov_b32_e32 v3, 0
	s_waitcnt lgkmcnt(0)
	v_cmp_lt_u64_e64 s[0:1], s[10:11], 2
	v_mov_b32_e32 v1, 0
	v_mov_b32_e32 v6, v3
	s_and_b64 vcc, exec, s[0:1]
	v_mov_b32_e32 v2, 0
	s_cbranch_vccnz .LBB0_8
; %bb.1:
	s_load_dwordx2 s[0:1], s[4:5], 0x10
	s_add_u32 s6, s2, 8
	s_addc_u32 s7, s3, 0
	v_mov_b32_e32 v1, 0
	v_mov_b32_e32 v2, 0
	s_waitcnt lgkmcnt(0)
	s_add_u32 s14, s0, 8
	s_addc_u32 s15, s1, 0
	s_mov_b64 s[16:17], 1
.LBB0_2:                                ; =>This Inner Loop Header: Depth=1
	s_load_dwordx2 s[18:19], s[14:15], 0x0
                                        ; implicit-def: $vgpr7_vgpr8
	s_waitcnt lgkmcnt(0)
	v_or_b32_e32 v4, s19, v6
	v_cmp_ne_u64_e32 vcc, 0, v[3:4]
	s_and_saveexec_b64 s[0:1], vcc
	s_xor_b64 s[20:21], exec, s[0:1]
	s_cbranch_execz .LBB0_4
; %bb.3:                                ;   in Loop: Header=BB0_2 Depth=1
	v_cvt_f32_u32_e32 v4, s18
	v_cvt_f32_u32_e32 v7, s19
	s_sub_u32 s0, 0, s18
	s_subb_u32 s1, 0, s19
	v_mac_f32_e32 v4, 0x4f800000, v7
	v_rcp_f32_e32 v4, v4
	v_mul_f32_e32 v4, 0x5f7ffffc, v4
	v_mul_f32_e32 v7, 0x2f800000, v4
	v_trunc_f32_e32 v7, v7
	v_mac_f32_e32 v4, 0xcf800000, v7
	v_cvt_u32_f32_e32 v7, v7
	v_cvt_u32_f32_e32 v4, v4
	v_mul_lo_u32 v8, s0, v7
	v_mul_hi_u32 v9, s0, v4
	v_mul_lo_u32 v11, s1, v4
	v_mul_lo_u32 v10, s0, v4
	v_add_u32_e32 v8, v9, v8
	v_add_u32_e32 v8, v8, v11
	v_mul_hi_u32 v9, v4, v10
	v_mul_lo_u32 v11, v4, v8
	v_mul_hi_u32 v13, v4, v8
	v_mul_hi_u32 v12, v7, v10
	v_mul_lo_u32 v10, v7, v10
	v_mul_hi_u32 v14, v7, v8
	v_add_co_u32_e32 v9, vcc, v9, v11
	v_addc_co_u32_e32 v11, vcc, 0, v13, vcc
	v_mul_lo_u32 v8, v7, v8
	v_add_co_u32_e32 v9, vcc, v9, v10
	v_addc_co_u32_e32 v9, vcc, v11, v12, vcc
	v_addc_co_u32_e32 v10, vcc, 0, v14, vcc
	v_add_co_u32_e32 v8, vcc, v9, v8
	v_addc_co_u32_e32 v9, vcc, 0, v10, vcc
	v_add_co_u32_e32 v4, vcc, v4, v8
	v_addc_co_u32_e32 v7, vcc, v7, v9, vcc
	v_mul_lo_u32 v8, s0, v7
	v_mul_hi_u32 v9, s0, v4
	v_mul_lo_u32 v10, s1, v4
	v_mul_lo_u32 v11, s0, v4
	v_add_u32_e32 v8, v9, v8
	v_add_u32_e32 v8, v8, v10
	v_mul_lo_u32 v12, v4, v8
	v_mul_hi_u32 v13, v4, v11
	v_mul_hi_u32 v14, v4, v8
	;; [unrolled: 1-line block ×3, first 2 shown]
	v_mul_lo_u32 v11, v7, v11
	v_mul_hi_u32 v9, v7, v8
	v_add_co_u32_e32 v12, vcc, v13, v12
	v_addc_co_u32_e32 v13, vcc, 0, v14, vcc
	v_mul_lo_u32 v8, v7, v8
	v_add_co_u32_e32 v11, vcc, v12, v11
	v_addc_co_u32_e32 v10, vcc, v13, v10, vcc
	v_addc_co_u32_e32 v9, vcc, 0, v9, vcc
	v_add_co_u32_e32 v8, vcc, v10, v8
	v_addc_co_u32_e32 v9, vcc, 0, v9, vcc
	v_add_co_u32_e32 v4, vcc, v4, v8
	v_addc_co_u32_e32 v9, vcc, v7, v9, vcc
	v_mad_u64_u32 v[7:8], s[0:1], v5, v9, 0
	v_mul_hi_u32 v10, v5, v4
	v_add_co_u32_e32 v11, vcc, v10, v7
	v_addc_co_u32_e32 v12, vcc, 0, v8, vcc
	v_mad_u64_u32 v[7:8], s[0:1], v6, v4, 0
	v_mad_u64_u32 v[9:10], s[0:1], v6, v9, 0
	v_add_co_u32_e32 v4, vcc, v11, v7
	v_addc_co_u32_e32 v4, vcc, v12, v8, vcc
	v_addc_co_u32_e32 v7, vcc, 0, v10, vcc
	v_add_co_u32_e32 v4, vcc, v4, v9
	v_addc_co_u32_e32 v9, vcc, 0, v7, vcc
	v_mul_lo_u32 v10, s19, v4
	v_mul_lo_u32 v11, s18, v9
	v_mad_u64_u32 v[7:8], s[0:1], s18, v4, 0
	v_add3_u32 v8, v8, v11, v10
	v_sub_u32_e32 v10, v6, v8
	v_mov_b32_e32 v11, s19
	v_sub_co_u32_e32 v7, vcc, v5, v7
	v_subb_co_u32_e64 v10, s[0:1], v10, v11, vcc
	v_subrev_co_u32_e64 v11, s[0:1], s18, v7
	v_subbrev_co_u32_e64 v10, s[0:1], 0, v10, s[0:1]
	v_cmp_le_u32_e64 s[0:1], s19, v10
	v_cndmask_b32_e64 v12, 0, -1, s[0:1]
	v_cmp_le_u32_e64 s[0:1], s18, v11
	v_cndmask_b32_e64 v11, 0, -1, s[0:1]
	v_cmp_eq_u32_e64 s[0:1], s19, v10
	v_cndmask_b32_e64 v10, v12, v11, s[0:1]
	v_add_co_u32_e64 v11, s[0:1], 2, v4
	v_addc_co_u32_e64 v12, s[0:1], 0, v9, s[0:1]
	v_add_co_u32_e64 v13, s[0:1], 1, v4
	v_addc_co_u32_e64 v14, s[0:1], 0, v9, s[0:1]
	v_subb_co_u32_e32 v8, vcc, v6, v8, vcc
	v_cmp_ne_u32_e64 s[0:1], 0, v10
	v_cmp_le_u32_e32 vcc, s19, v8
	v_cndmask_b32_e64 v10, v14, v12, s[0:1]
	v_cndmask_b32_e64 v12, 0, -1, vcc
	v_cmp_le_u32_e32 vcc, s18, v7
	v_cndmask_b32_e64 v7, 0, -1, vcc
	v_cmp_eq_u32_e32 vcc, s19, v8
	v_cndmask_b32_e32 v7, v12, v7, vcc
	v_cmp_ne_u32_e32 vcc, 0, v7
	v_cndmask_b32_e64 v7, v13, v11, s[0:1]
	v_cndmask_b32_e32 v8, v9, v10, vcc
	v_cndmask_b32_e32 v7, v4, v7, vcc
.LBB0_4:                                ;   in Loop: Header=BB0_2 Depth=1
	s_andn2_saveexec_b64 s[0:1], s[20:21]
	s_cbranch_execz .LBB0_6
; %bb.5:                                ;   in Loop: Header=BB0_2 Depth=1
	v_cvt_f32_u32_e32 v4, s18
	s_sub_i32 s20, 0, s18
	v_rcp_iflag_f32_e32 v4, v4
	v_mul_f32_e32 v4, 0x4f7ffffe, v4
	v_cvt_u32_f32_e32 v4, v4
	v_mul_lo_u32 v7, s20, v4
	v_mul_hi_u32 v7, v4, v7
	v_add_u32_e32 v4, v4, v7
	v_mul_hi_u32 v4, v5, v4
	v_mul_lo_u32 v7, v4, s18
	v_add_u32_e32 v8, 1, v4
	v_sub_u32_e32 v7, v5, v7
	v_subrev_u32_e32 v9, s18, v7
	v_cmp_le_u32_e32 vcc, s18, v7
	v_cndmask_b32_e32 v7, v7, v9, vcc
	v_cndmask_b32_e32 v4, v4, v8, vcc
	v_add_u32_e32 v8, 1, v4
	v_cmp_le_u32_e32 vcc, s18, v7
	v_cndmask_b32_e32 v7, v4, v8, vcc
	v_mov_b32_e32 v8, v3
.LBB0_6:                                ;   in Loop: Header=BB0_2 Depth=1
	s_or_b64 exec, exec, s[0:1]
	v_mul_lo_u32 v4, v8, s18
	v_mul_lo_u32 v11, v7, s19
	v_mad_u64_u32 v[9:10], s[0:1], v7, s18, 0
	s_load_dwordx2 s[0:1], s[6:7], 0x0
	s_add_u32 s16, s16, 1
	v_add3_u32 v4, v10, v11, v4
	v_sub_co_u32_e32 v5, vcc, v5, v9
	v_subb_co_u32_e32 v4, vcc, v6, v4, vcc
	s_waitcnt lgkmcnt(0)
	v_mul_lo_u32 v4, s0, v4
	v_mul_lo_u32 v6, s1, v5
	v_mad_u64_u32 v[1:2], s[0:1], s0, v5, v[1:2]
	s_addc_u32 s17, s17, 0
	s_add_u32 s6, s6, 8
	v_add3_u32 v2, v6, v2, v4
	v_mov_b32_e32 v4, s10
	v_mov_b32_e32 v5, s11
	s_addc_u32 s7, s7, 0
	v_cmp_ge_u64_e32 vcc, s[16:17], v[4:5]
	s_add_u32 s14, s14, 8
	s_addc_u32 s15, s15, 0
	s_cbranch_vccnz .LBB0_9
; %bb.7:                                ;   in Loop: Header=BB0_2 Depth=1
	v_mov_b32_e32 v5, v7
	v_mov_b32_e32 v6, v8
	s_branch .LBB0_2
.LBB0_8:
	v_mov_b32_e32 v8, v6
	v_mov_b32_e32 v7, v5
.LBB0_9:
	s_lshl_b64 s[0:1], s[10:11], 3
	s_add_u32 s0, s2, s0
	s_addc_u32 s1, s3, s1
	s_load_dwordx2 s[2:3], s[0:1], 0x0
	s_load_dwordx2 s[6:7], s[4:5], 0x20
                                        ; implicit-def: $vgpr10
                                        ; implicit-def: $vgpr9
                                        ; implicit-def: $vgpr6
                                        ; implicit-def: $vgpr11
                                        ; implicit-def: $vgpr15
                                        ; implicit-def: $vgpr12
                                        ; implicit-def: $vgpr13
                                        ; implicit-def: $vgpr17
                                        ; implicit-def: $vgpr14
                                        ; implicit-def: $vgpr16
                                        ; implicit-def: $vgpr18
                                        ; implicit-def: $vgpr22
                                        ; implicit-def: $vgpr26
                                        ; implicit-def: $vgpr21
                                        ; implicit-def: $vgpr19
	s_waitcnt lgkmcnt(0)
	v_mad_u64_u32 v[1:2], s[0:1], s2, v7, v[1:2]
	v_mul_lo_u32 v3, s2, v8
	v_mul_lo_u32 v4, s3, v7
	s_mov_b32 s0, 0x1681682
	v_mul_hi_u32 v5, v0, s0
	v_cmp_gt_u64_e32 vcc, s[6:7], v[7:8]
	v_add3_u32 v2, v4, v2, v3
	v_lshlrev_b64 v[2:3], 2, v[1:2]
	v_mul_u32_u24_e32 v4, 0xb6, v5
	v_sub_u32_e32 v0, v0, v4
                                        ; implicit-def: $vgpr7
                                        ; implicit-def: $vgpr4
                                        ; implicit-def: $vgpr1
                                        ; implicit-def: $vgpr5
                                        ; implicit-def: $vgpr8
	s_and_saveexec_b64 s[2:3], vcc
	s_cbranch_execz .LBB0_11
; %bb.10:
	v_mov_b32_e32 v1, 0
	v_mov_b32_e32 v4, s13
	v_add_co_u32_e64 v6, s[0:1], s12, v2
	v_addc_co_u32_e64 v7, s[0:1], v4, v3, s[0:1]
	v_lshlrev_b64 v[4:5], 2, v[0:1]
	v_add_co_u32_e64 v6, s[0:1], v6, v4
	v_addc_co_u32_e64 v7, s[0:1], v7, v5, s[0:1]
	s_movk_i32 s0, 0x1000
	v_add_co_u32_e64 v15, s[0:1], s0, v6
	v_addc_co_u32_e64 v16, s[0:1], 0, v7, s[0:1]
	global_load_dword v4, v[6:7], off
	global_load_dword v10, v[6:7], off offset:728
	global_load_dword v5, v[6:7], off offset:1456
	;; [unrolled: 1-line block ×9, first 2 shown]
	s_waitcnt vmcnt(9)
	v_lshrrev_b32_e32 v7, 16, v4
	s_waitcnt vmcnt(8)
	v_lshrrev_b32_e32 v1, 16, v10
	;; [unrolled: 2-line block ×10, first 2 shown]
.LBB0_11:
	s_or_b64 exec, exec, s[2:3]
	v_sub_f16_e32 v20, v5, v8
	v_sub_f16_e32 v23, v26, v14
	v_add_f16_e32 v20, v20, v23
	v_sub_f16_e32 v23, v8, v5
	v_sub_f16_e32 v24, v14, v26
	v_add_f16_e32 v23, v23, v24
	v_add_f16_e32 v24, v5, v26
	s_mov_b32 s10, 0xbb9c
	s_movk_i32 s5, 0x3b9c
	v_fma_f16 v24, v24, -0.5, v4
	v_sub_f16_e32 v27, v15, v17
	s_mov_b32 s7, 0xb8b4
	s_movk_i32 s4, 0x38b4
	v_sub_f16_e32 v25, v9, v22
	v_fma_f16 v28, v27, s5, v24
	v_fma_f16 v24, v27, s10, v24
	s_movk_i32 s6, 0x34f2
	v_fma_f16 v28, v25, s7, v28
	v_fma_f16 v24, v25, s4, v24
	v_fma_f16 v28, v23, s6, v28
	v_fma_f16 v24, v23, s6, v24
	v_sub_f16_e32 v23, v11, v13
	v_sub_f16_e32 v29, v19, v18
	v_add_f16_e32 v23, v23, v29
	v_sub_f16_e32 v29, v13, v11
	v_sub_f16_e32 v30, v18, v19
	v_add_f16_e32 v29, v29, v30
	v_add_f16_e32 v30, v11, v19
	v_fma_f16 v30, v30, -0.5, v10
	v_sub_f16_e32 v38, v12, v16
	v_sub_f16_e32 v37, v6, v21
	v_fma_f16 v31, v38, s5, v30
	v_fma_f16 v30, v38, s10, v30
	;; [unrolled: 1-line block ×6, first 2 shown]
	v_add_f16_e32 v29, v13, v18
	v_fma_f16 v29, v29, -0.5, v10
	v_add_f16_e32 v10, v10, v11
	v_add_f16_e32 v10, v10, v13
	;; [unrolled: 1-line block ×4, first 2 shown]
	v_sub_f16_e32 v19, v11, v19
	v_sub_f16_e32 v10, v6, v12
	;; [unrolled: 1-line block ×3, first 2 shown]
	v_add_f16_e32 v40, v10, v11
	v_sub_f16_e32 v10, v12, v6
	v_sub_f16_e32 v11, v16, v21
	v_add_f16_e32 v10, v10, v11
	v_add_f16_e32 v11, v6, v21
	v_sub_f16_e32 v18, v13, v18
	v_fma_f16 v11, v11, -0.5, v1
	v_fma_f16 v13, v18, s10, v11
	v_fma_f16 v11, v18, s5, v11
	;; [unrolled: 1-line block ×6, first 2 shown]
	v_add_f16_e32 v10, v8, v14
	v_fma_f16 v41, v10, -0.5, v4
	v_add_f16_e32 v4, v4, v5
	v_add_f16_e32 v4, v4, v8
	;; [unrolled: 1-line block ×4, first 2 shown]
	v_fma_f16 v4, v25, s10, v41
	v_fma_f16 v4, v27, s7, v4
	;; [unrolled: 1-line block ×6, first 2 shown]
	v_add_f16_e32 v4, v12, v16
	v_fma_f16 v44, v4, -0.5, v1
	v_fma_f16 v4, v19, s5, v44
	v_fma_f16 v4, v18, s4, v4
	;; [unrolled: 1-line block ×4, first 2 shown]
	s_movk_i32 s0, 0x3a79
	v_mul_f16_e32 v4, 0xb8b4, v36
	v_fma_f16 v25, v27, s4, v25
	v_fma_f16 v19, v19, s10, v44
	;; [unrolled: 1-line block ×3, first 2 shown]
	v_mul_f16_e32 v4, 0xbb9c, v33
	v_fma_f16 v25, v20, s6, v25
	v_fma_f16 v20, v37, s5, v29
	;; [unrolled: 1-line block ×4, first 2 shown]
	s_mov_b32 s0, 0xb4f2
	v_mul_f16_e32 v4, 0xbb9c, v34
	v_fma_f16 v20, v38, s4, v20
	v_fma_f16 v38, v40, s6, v18
	;; [unrolled: 1-line block ×4, first 2 shown]
	s_mov_b32 s0, 0xba79
	v_mul_f16_e32 v23, 0xb8b4, v38
	v_mul_u32_u24_e32 v4, 10, v0
	v_fma_f16 v27, v37, s0, v23
	v_lshl_add_u32 v32, v4, 1, 0
	v_add_f16_e32 v4, v42, v39
	v_add_f16_e32 v10, v43, v45
	;; [unrolled: 1-line block ×4, first 2 shown]
	v_sub_f16_e32 v18, v42, v39
	v_sub_f16_e32 v19, v43, v45
	;; [unrolled: 1-line block ×3, first 2 shown]
	v_add_f16_e32 v23, v25, v27
	v_sub_f16_e32 v24, v24, v47
	v_sub_f16_e32 v25, v25, v27
	s_movk_i32 s0, 0x8c
	v_pack_b32_f16 v48, v11, v13
	v_pack_b32_f16 v49, v4, v10
	;; [unrolled: 1-line block ×5, first 2 shown]
	v_cmp_gt_u32_e64 s[0:1], s0, v0
	ds_write2_b32 v32, v49, v48 offset1:1
	ds_write2_b32 v32, v29, v28 offset0:2 offset1:3
	ds_write_b32 v32, v27 offset:16
	s_waitcnt lgkmcnt(0)
	s_barrier
	s_waitcnt lgkmcnt(0)
                                        ; implicit-def: $vgpr27
                                        ; implicit-def: $vgpr28
                                        ; implicit-def: $vgpr29
	s_and_saveexec_b64 s[2:3], s[0:1]
	s_cbranch_execz .LBB0_13
; %bb.12:
	s_movk_i32 s11, 0xffee
	v_mad_i32_i24 v28, v0, s11, v32
	ds_read_u16 v4, v28
	ds_read_u16 v10, v28 offset:280
	ds_read_u16 v11, v28 offset:560
	;; [unrolled: 1-line block ×12, first 2 shown]
.LBB0_13:
	s_or_b64 exec, exec, s[2:3]
	v_add_f16_e32 v40, v15, v17
	v_fma_f16 v40, v40, -0.5, v7
	v_sub_f16_e32 v5, v5, v26
	v_fma_f16 v26, v5, s5, v40
	v_sub_f16_e32 v8, v8, v14
	v_fma_f16 v14, v8, s4, v26
	v_sub_f16_e32 v26, v9, v15
	v_sub_f16_e32 v41, v22, v17
	v_fma_f16 v40, v5, s10, v40
	v_add_f16_e32 v26, v26, v41
	v_fma_f16 v40, v8, s7, v40
	v_fma_f16 v14, v26, s6, v14
	v_fma_f16 v40, v26, s6, v40
	v_add_f16_e32 v26, v9, v22
	v_add_f16_e32 v39, v7, v9
	v_fma_f16 v7, v26, -0.5, v7
	v_add_f16_e32 v39, v39, v15
	v_fma_f16 v26, v8, s10, v7
	v_sub_f16_e32 v9, v15, v9
	v_sub_f16_e32 v15, v17, v22
	v_fma_f16 v7, v8, s5, v7
	v_add_f16_e32 v1, v1, v6
	v_fma_f16 v26, v5, s4, v26
	v_add_f16_e32 v9, v9, v15
	;; [unrolled: 2-line block ×3, first 2 shown]
	v_add_f16_e32 v39, v39, v17
	v_fma_f16 v15, v9, s6, v26
	v_fma_f16 v7, v9, s6, v5
	v_add_f16_e32 v1, v1, v16
	v_mul_f16_e32 v5, 0x3a79, v36
	v_mul_f16_e32 v8, 0x3b9c, v31
	;; [unrolled: 1-line block ×3, first 2 shown]
	v_add_f16_e32 v39, v39, v22
	v_add_f16_e32 v6, v1, v21
	v_fma_f16 v12, v35, s4, v5
	v_fma_f16 v21, v33, s6, v8
	v_fma_f16 v22, v30, s5, -v9
	v_mul_f16_e32 v16, 0x3a79, v38
	v_add_f16_e32 v1, v39, v6
	v_add_f16_e32 v5, v14, v12
	;; [unrolled: 1-line block ×4, first 2 shown]
	v_fma_f16 v31, v37, s4, -v16
	v_add_f16_e32 v16, v40, v31
	v_sub_f16_e32 v17, v39, v6
	v_sub_f16_e32 v30, v14, v12
	;; [unrolled: 1-line block ×4, first 2 shown]
	v_pack_b32_f16 v6, v8, v9
	v_pack_b32_f16 v7, v1, v5
	v_sub_f16_e32 v22, v40, v31
	s_waitcnt lgkmcnt(0)
	s_barrier
	ds_write2_b32 v32, v7, v6 offset1:1
	v_pack_b32_f16 v6, v30, v26
	v_pack_b32_f16 v7, v16, v17
	ds_write2_b32 v32, v7, v6 offset0:2 offset1:3
	v_pack_b32_f16 v6, v21, v22
	ds_write_b32 v32, v6 offset:16
	s_waitcnt lgkmcnt(0)
	s_barrier
	s_waitcnt lgkmcnt(0)
                                        ; implicit-def: $vgpr41
                                        ; implicit-def: $vgpr42
                                        ; implicit-def: $vgpr40
	s_and_saveexec_b64 s[2:3], s[0:1]
	s_cbranch_execz .LBB0_15
; %bb.14:
	s_movk_i32 s4, 0xffee
	v_mad_i32_i24 v6, v0, s4, v32
	ds_read_u16 v1, v6
	ds_read_u16 v5, v6 offset:280
	ds_read_u16 v8, v6 offset:560
	;; [unrolled: 1-line block ×12, first 2 shown]
.LBB0_15:
	s_or_b64 exec, exec, s[2:3]
	s_movk_i32 s2, 0xcd
	v_mul_lo_u16_sdwa v6, v0, s2 dst_sel:DWORD dst_unused:UNUSED_PAD src0_sel:BYTE_0 src1_sel:DWORD
	v_lshrrev_b16_e32 v6, 11, v6
	v_mul_lo_u16_e32 v7, 10, v6
	v_sub_u16_e32 v7, v0, v7
	v_mov_b32_e32 v12, 12
	v_mul_u32_u24_sdwa v12, v7, v12 dst_sel:DWORD dst_unused:UNUSED_PAD src0_sel:BYTE_0 src1_sel:DWORD
	v_lshlrev_b32_e32 v12, 2, v12
	global_load_dwordx4 v[31:34], v12, s[8:9]
	global_load_dwordx4 v[35:38], v12, s[8:9] offset:16
	global_load_dwordx4 v[43:46], v12, s[8:9] offset:32
	s_mov_b32 s2, 0xbbf1b770
	s_mov_b32 s4, 0x2fb73b15
	;; [unrolled: 1-line block ×16, first 2 shown]
	s_waitcnt vmcnt(0) lgkmcnt(0)
	s_barrier
	v_mul_f16_sdwa v12, v5, v31 dst_sel:DWORD dst_unused:UNUSED_PAD src0_sel:DWORD src1_sel:WORD_1
	v_mul_f16_sdwa v14, v10, v31 dst_sel:DWORD dst_unused:UNUSED_PAD src0_sel:DWORD src1_sel:WORD_1
	;; [unrolled: 1-line block ×19, first 2 shown]
	v_fma_f16 v10, v10, v31, v12
	v_fma_f16 v12, v5, v31, -v14
	v_fma_f16 v31, v11, v32, v15
	v_fma_f16 v14, v8, v32, -v39
	;; [unrolled: 2-line block ×8, first 2 shown]
	v_mul_f16_sdwa v60, v25, v43 dst_sel:DWORD dst_unused:UNUSED_PAD src0_sel:DWORD src1_sel:WORD_1
	v_mul_f16_sdwa v62, v29, v44 dst_sel:DWORD dst_unused:UNUSED_PAD src0_sel:DWORD src1_sel:WORD_1
	;; [unrolled: 1-line block ×3, first 2 shown]
	v_fma_f16 v23, v41, v45, -v64
	v_fma_f16 v41, v28, v46, v65
	v_sub_f16_e32 v5, v12, v24
	v_mul_f16_sdwa v59, v22, v43 dst_sel:DWORD dst_unused:UNUSED_PAD src0_sel:DWORD src1_sel:WORD_1
	v_mul_f16_sdwa v61, v40, v44 dst_sel:DWORD dst_unused:UNUSED_PAD src0_sel:DWORD src1_sel:WORD_1
	v_fma_f16 v20, v21, v38, -v58
	v_fma_f16 v21, v22, v43, -v60
	;; [unrolled: 1-line block ×3, first 2 shown]
	v_fma_f16 v40, v27, v45, v63
	v_add_f16_e32 v51, v10, v41
	v_sub_f16_e32 v52, v14, v23
	v_pk_mul_f16 v27, v5, s2 op_sel_hi:[0,1]
	v_fma_f16 v39, v29, v44, v61
	v_add_f16_e32 v42, v31, v40
	v_sub_f16_e32 v53, v15, v22
	v_pk_mul_f16 v26, v52, s3 op_sel_hi:[0,1]
	v_pk_fma_f16 v8, v51, s4, v27 op_sel_hi:[0,1,1] neg_lo:[0,0,1] neg_hi:[0,0,1]
	v_fma_f16 v38, v25, v43, v59
	v_add_f16_e32 v44, v32, v39
	v_sub_f16_e32 v54, v16, v21
	v_pk_mul_f16 v25, v53, s14 op_sel_hi:[0,1]
	v_pk_fma_f16 v9, v42, s5, v26 op_sel_hi:[0,1,1] neg_lo:[0,0,1] neg_hi:[0,0,1]
	v_pk_add_f16 v8, v4, v8 op_sel_hi:[0,1]
	v_add_f16_e32 v45, v33, v38
	v_sub_f16_e32 v55, v17, v20
	v_pk_mul_f16 v13, v54, s20 op_sel_hi:[0,1]
	v_pk_fma_f16 v28, v44, s6, v25 op_sel_hi:[0,1,1] neg_lo:[0,0,1] neg_hi:[0,0,1]
	v_pk_add_f16 v8, v9, v8
	v_add_f16_e32 v46, v34, v37
	v_sub_f16_e32 v58, v18, v19
	v_pk_mul_f16 v11, v55, s21 op_sel_hi:[0,1]
	v_pk_fma_f16 v29, v45, s7, v13 op_sel_hi:[0,1,1] neg_lo:[0,0,1] neg_hi:[0,0,1]
	v_pk_add_f16 v8, v28, v8
	s_mov_b32 s2, 0xb94eb3a8
	v_add_f16_e32 v48, v35, v36
	v_pk_fma_f16 v30, v46, s10, v11 op_sel_hi:[0,1,1] neg_lo:[0,0,1] neg_hi:[0,0,1]
	v_pk_add_f16 v8, v29, v8
	v_pk_mul_f16 v28, v58, s2 op_sel_hi:[0,1]
	s_mov_b32 s3, 0xba95bb7b
	v_pk_add_f16 v8, v30, v8
	v_pk_fma_f16 v9, v48, s11, v28 op_sel_hi:[0,1,1] neg_lo:[0,0,1] neg_hi:[0,0,1]
	s_mov_b32 s14, 0x388bb5ac
	v_pk_mul_f16 v29, v5, s3 op_sel_hi:[0,1]
	s_mov_b32 s3, 0xbb7b394e
	v_pk_add_f16 v8, v9, v8
	v_pk_fma_f16 v9, v51, s14, v29 op_sel_hi:[0,1,1] neg_lo:[0,0,1] neg_hi:[0,0,1]
	v_pk_mul_f16 v30, v52, s3 op_sel_hi:[0,1]
	v_pk_add_f16 v9, v4, v9 op_sel_hi:[0,1]
	v_pk_fma_f16 v43, v42, s16, v30 op_sel_hi:[0,1,1] neg_lo:[0,0,1] neg_hi:[0,0,1]
	s_mov_b32 s3, 0xb3a83770
	v_pk_add_f16 v9, v43, v9
	v_pk_mul_f16 v43, v53, s3 op_sel_hi:[0,1]
	v_pk_fma_f16 v47, v44, s17, v43 op_sel_hi:[0,1,1] neg_lo:[0,0,1] neg_hi:[0,0,1]
	s_mov_b32 s3, 0x394ebbf1
	v_pk_add_f16 v9, v47, v9
	v_pk_mul_f16 v47, v54, s3 op_sel_hi:[0,1]
	;; [unrolled: 4-line block ×4, first 2 shown]
	v_pk_fma_f16 v56, v48, s15, v50 op_sel_hi:[0,1,1] neg_lo:[0,0,1] neg_hi:[0,0,1]
	v_pk_mul_f16 v57, v5, s2 op_sel_hi:[0,1]
	s_mov_b32 s2, 0x3bf13770
	v_pk_add_f16 v9, v56, v9
	v_pk_fma_f16 v5, v51, s11, v57 op_sel_hi:[0,1,1] neg_lo:[0,0,1] neg_hi:[0,0,1]
	v_pk_mul_f16 v56, v52, s2 op_sel_hi:[0,1]
	v_pk_add_f16 v5, v4, v5 op_sel_hi:[0,1]
	v_pk_fma_f16 v52, v42, s4, v56 op_sel_hi:[0,1,1] neg_lo:[0,0,1] neg_hi:[0,0,1]
	v_pk_add_f16 v5, v52, v5
	v_pk_mul_f16 v52, v53, s21 op_sel_hi:[0,1]
	v_pk_fma_f16 v53, v44, s10, v52 op_sel_hi:[0,1,1] neg_lo:[0,0,1] neg_hi:[0,0,1]
	s_mov_b32 s2, 0x33a83a95
	v_pk_add_f16 v5, v53, v5
	v_pk_mul_f16 v53, v54, s2 op_sel_hi:[0,1]
	v_pk_fma_f16 v54, v45, s5, v53 op_sel_hi:[0,1,1] neg_lo:[0,0,1] neg_hi:[0,0,1]
	v_pk_add_f16 v5, v54, v5
	v_pk_mul_f16 v54, v55, s20 op_sel_hi:[0,1]
	v_pk_fma_f16 v55, v46, s7, v54 op_sel_hi:[0,1,1] neg_lo:[0,0,1] neg_hi:[0,0,1]
	s_mov_b32 s2, 0xbb7b3bf1
	v_pk_add_f16 v5, v55, v5
	v_pk_mul_f16 v55, v58, s2 op_sel_hi:[0,1]
	v_pk_fma_f16 v58, v48, s6, v55 op_sel_hi:[0,1,1] neg_lo:[0,0,1] neg_hi:[0,0,1]
	v_pk_add_f16 v5, v58, v5
	s_and_saveexec_b64 s[2:3], s[0:1]
	s_cbranch_execz .LBB0_17
; %bb.16:
	v_pk_mul_f16 v58, v51, s4 op_sel_hi:[0,1]
	v_pk_mul_f16 v59, v42, s5 op_sel_hi:[0,1]
	;; [unrolled: 1-line block ×8, first 2 shown]
	v_pk_add_f16 v51, v51, v57
	v_pk_mul_f16 v44, v44, s10 op_sel_hi:[0,1]
	v_pk_add_f16 v42, v42, v56
	v_add_f16_e32 v56, v4, v10
	v_add_f16_e32 v56, v56, v31
	v_pk_add_f16 v44, v44, v52
	v_add_f16_e32 v52, v4, v51
	v_add_f16_sdwa v51, v4, v51 dst_sel:DWORD dst_unused:UNUSED_PAD src0_sel:DWORD src1_sel:WORD_1
	v_pk_mul_f16 v61, v45, s7 op_sel_hi:[0,1]
	v_pk_mul_f16 v67, v45, s18 op_sel_hi:[0,1]
	;; [unrolled: 1-line block ×3, first 2 shown]
	v_add_f16_e32 v56, v56, v32
	v_add_f16_e32 v52, v42, v52
	v_add_f16_sdwa v42, v42, v51 dst_sel:DWORD dst_unused:UNUSED_PAD src0_sel:WORD_1 src1_sel:DWORD
	v_pk_mul_f16 v62, v46, s10 op_sel_hi:[0,1]
	v_pk_mul_f16 v68, v46, s19 op_sel_hi:[0,1]
	;; [unrolled: 1-line block ×3, first 2 shown]
	v_add_f16_e32 v56, v56, v33
	v_add_f16_e32 v52, v44, v52
	v_pk_add_f16 v45, v45, v53
	v_add_f16_sdwa v42, v44, v42 dst_sel:DWORD dst_unused:UNUSED_PAD src0_sel:WORD_1 src1_sel:DWORD
	v_pk_mul_f16 v63, v48, s11 op_sel_hi:[0,1]
	v_pk_mul_f16 v57, v48, s15 op_sel_hi:[0,1]
	v_pk_mul_f16 v48, v48, s6 op_sel_hi:[0,1]
	v_add_f16_e32 v56, v56, v34
	v_add_f16_e32 v52, v45, v52
	v_pk_add_f16 v46, v46, v54
	v_add_f16_sdwa v42, v45, v42 dst_sel:DWORD dst_unused:UNUSED_PAD src0_sel:WORD_1 src1_sel:DWORD
	v_add_f16_e32 v56, v56, v35
	v_add_f16_e32 v52, v46, v52
	v_pk_add_f16 v48, v48, v55
	v_add_f16_sdwa v42, v46, v42 dst_sel:DWORD dst_unused:UNUSED_PAD src0_sel:WORD_1 src1_sel:DWORD
	v_pk_add_f16 v29, v64, v29
	v_pk_add_f16 v27, v58, v27
	v_add_f16_e32 v56, v56, v36
	v_add_f16_e32 v52, v48, v52
	v_add_f16_sdwa v42, v48, v42 dst_sel:DWORD dst_unused:UNUSED_PAD src0_sel:WORD_1 src1_sel:DWORD
	v_add_f16_e32 v44, v4, v29
	v_add_f16_sdwa v48, v4, v27 dst_sel:DWORD dst_unused:UNUSED_PAD src0_sel:DWORD src1_sel:WORD_1
	v_pk_add_f16 v26, v59, v26
	v_add_f16_sdwa v29, v4, v29 dst_sel:DWORD dst_unused:UNUSED_PAD src0_sel:DWORD src1_sel:WORD_1
	v_add_f16_e32 v4, v4, v27
	v_add_f16_e32 v56, v56, v37
	v_pk_add_f16 v30, v65, v30
	v_add_f16_sdwa v48, v26, v48 dst_sel:DWORD dst_unused:UNUSED_PAD src0_sel:WORD_1 src1_sel:DWORD
	v_pk_add_f16 v25, v60, v25
	v_add_f16_e32 v4, v26, v4
	v_add_f16_e32 v56, v56, v38
	;; [unrolled: 1-line block ×3, first 2 shown]
	v_pk_add_f16 v43, v66, v43
	v_add_f16_sdwa v48, v25, v48 dst_sel:DWORD dst_unused:UNUSED_PAD src0_sel:WORD_1 src1_sel:DWORD
	v_pk_add_f16 v13, v61, v13
	v_add_f16_sdwa v29, v30, v29 dst_sel:DWORD dst_unused:UNUSED_PAD src0_sel:WORD_1 src1_sel:DWORD
	v_add_f16_e32 v4, v25, v4
	v_add_f16_e32 v56, v56, v39
	;; [unrolled: 1-line block ×3, first 2 shown]
	v_pk_add_f16 v45, v67, v47
	v_add_f16_sdwa v48, v13, v48 dst_sel:DWORD dst_unused:UNUSED_PAD src0_sel:WORD_1 src1_sel:DWORD
	v_pk_add_f16 v11, v62, v11
	v_add_f16_sdwa v29, v43, v29 dst_sel:DWORD dst_unused:UNUSED_PAD src0_sel:WORD_1 src1_sel:DWORD
	v_add_f16_e32 v4, v13, v4
	v_mov_b32_e32 v13, 1
	v_add_f16_e32 v56, v56, v40
	v_add_f16_e32 v44, v45, v44
	v_pk_add_f16 v46, v68, v49
	v_add_f16_sdwa v48, v11, v48 dst_sel:DWORD dst_unused:UNUSED_PAD src0_sel:WORD_1 src1_sel:DWORD
	v_add_f16_sdwa v29, v45, v29 dst_sel:DWORD dst_unused:UNUSED_PAD src0_sel:WORD_1 src1_sel:DWORD
	v_add_f16_e32 v4, v11, v4
	v_mul_u32_u24_e32 v11, 0x104, v6
	v_lshlrev_b32_sdwa v13, v13, v7 dst_sel:DWORD dst_unused:UNUSED_PAD src0_sel:DWORD src1_sel:BYTE_0
	v_add_f16_e32 v56, v56, v41
	v_add_f16_e32 v44, v46, v44
	v_pk_add_f16 v47, v57, v50
	v_pk_add_f16 v28, v63, v28
	v_add_f16_sdwa v29, v46, v29 dst_sel:DWORD dst_unused:UNUSED_PAD src0_sel:WORD_1 src1_sel:DWORD
	v_add3_u32 v11, 0, v11, v13
	v_add_f16_e32 v44, v47, v44
	v_add_f16_sdwa v48, v28, v48 dst_sel:DWORD dst_unused:UNUSED_PAD src0_sel:WORD_1 src1_sel:DWORD
	v_add_f16_sdwa v29, v47, v29 dst_sel:DWORD dst_unused:UNUSED_PAD src0_sel:WORD_1 src1_sel:DWORD
	v_add_f16_e32 v4, v28, v4
	ds_write_b16 v11, v56
	ds_write_b16 v11, v4 offset:20
	ds_write_b16 v11, v29 offset:40
	;; [unrolled: 1-line block ×7, first 2 shown]
	ds_write_b16_d16_hi v11, v5 offset:160
	ds_write_b16 v11, v9 offset:180
	ds_write_b16_d16_hi v11, v8 offset:200
	ds_write_b16_d16_hi v11, v9 offset:220
	ds_write_b16 v11, v8 offset:240
.LBB0_17:
	s_or_b64 exec, exec, s[2:3]
	v_lshl_add_u32 v4, v0, 1, 0
	s_waitcnt lgkmcnt(0)
	s_barrier
	ds_read_u16 v11, v4
	ds_read_u16 v30, v4 offset:520
	ds_read_u16 v29, v4 offset:1040
	;; [unrolled: 1-line block ×6, first 2 shown]
	s_movk_i32 s2, 0x4e
	v_cmp_gt_u32_e64 s[2:3], s2, v0
                                        ; implicit-def: $vgpr13
	s_and_saveexec_b64 s[4:5], s[2:3]
	s_cbranch_execz .LBB0_19
; %bb.18:
	ds_read_u16 v5, v4 offset:364
	ds_read_u16 v8, v4 offset:884
	ds_read_u16 v9, v4 offset:1404
	ds_read_u16 v42, v4 offset:1924
	ds_read_u16 v43, v4 offset:2444
	ds_read_u16 v44, v4 offset:2964
	ds_read_u16 v13, v4 offset:3484
	s_mov_b32 s6, 0x5040100
	s_waitcnt lgkmcnt(5)
	v_perm_b32 v5, v8, v5, s6
	s_waitcnt lgkmcnt(2)
	v_perm_b32 v9, v43, v9, s6
	;; [unrolled: 2-line block ×3, first 2 shown]
.LBB0_19:
	s_or_b64 exec, exec, s[4:5]
	v_add_f16_e32 v51, v12, v24
	s_mov_b32 s4, 0x3b15388b
	v_sub_f16_e32 v41, v10, v41
	v_add_f16_e32 v10, v14, v23
	v_sub_f16_e32 v38, v33, v38
	v_pk_mul_f16 v33, v51, s4 op_sel_hi:[0,1]
	s_mov_b32 s6, 0xb770ba95
	s_mov_b32 s5, 0x388bb5ac
	v_sub_f16_e32 v40, v31, v40
	v_add_f16_e32 v53, v15, v22
	v_sub_f16_e32 v43, v34, v37
	v_pk_fma_f16 v31, v41, s6, v33 op_sel_hi:[0,1,1]
	v_pk_mul_f16 v34, v10, s5 op_sel_hi:[0,1]
	s_mov_b32 s7, 0xba95bb7b
	s_mov_b32 s17, 0x2fb7bbc4
	v_sub_f16_e32 v39, v32, v39
	v_add_f16_e32 v54, v16, v21
	v_sub_f16_e32 v45, v35, v36
	v_pk_add_f16 v31, v1, v31 op_sel_hi:[0,1]
	v_pk_fma_f16 v32, v40, s7, v34 op_sel_hi:[0,1,1]
	v_pk_mul_f16 v35, v53, s17 op_sel_hi:[0,1]
	s_mov_b32 s10, 0xbbf1b3a8
	s_mov_b32 s21, 0xb5acb9fd
	v_add_f16_e32 v55, v17, v20
	v_pk_add_f16 v31, v32, v31
	v_pk_fma_f16 v32, v39, s10, v35 op_sel_hi:[0,1,1]
	v_pk_mul_f16 v36, v54, s21 op_sel_hi:[0,1]
	s_mov_b32 s11, 0xbb7b394e
	s_mov_b32 s16, 0xb9fd2fb7
	v_add_f16_e32 v56, v18, v19
	v_pk_add_f16 v31, v32, v31
	v_pk_fma_f16 v32, v38, s11, v36 op_sel_hi:[0,1,1]
	v_pk_mul_f16 v37, v55, s16 op_sel_hi:[0,1]
	s_mov_b32 s14, 0xb94e3bf1
	s_mov_b32 s19, 0xbbc43b15
	v_pk_add_f16 v31, v32, v31
	v_pk_fma_f16 v32, v43, s14, v37 op_sel_hi:[0,1,1]
	v_pk_mul_f16 v42, v56, s19 op_sel_hi:[0,1]
	s_mov_b32 s15, 0xb3a83770
	v_pk_add_f16 v31, v32, v31
	v_pk_fma_f16 v32, v45, s15, v42 op_sel_hi:[0,1,1]
	v_pk_mul_f16 v44, v51, s16 op_sel_hi:[0,1]
	;; [unrolled: 4-line block ×3, first 2 shown]
	s_mov_b32 s17, 0x3bf1b3a8
	v_pk_add_f16 v32, v1, v32 op_sel_hi:[0,1]
	v_pk_fma_f16 v47, v40, s17, v46 op_sel_hi:[0,1,1]
	v_pk_add_f16 v32, v47, v32
	v_pk_mul_f16 v47, v53, s5 op_sel_hi:[0,1]
	s_mov_b32 s18, 0xba953b7b
	v_pk_fma_f16 v48, v39, s18, v47 op_sel_hi:[0,1,1]
	v_pk_add_f16 v32, v48, v32
	v_pk_mul_f16 v48, v54, s19 op_sel_hi:[0,1]
	s_mov_b32 s19, 0x33a83770
	;; [unrolled: 4-line block ×4, first 2 shown]
	s_mov_b32 s4, 0xb5acbbc4
	v_pk_fma_f16 v52, v45, s21, v50 op_sel_hi:[0,1,1]
	v_pk_mul_f16 v51, v51, s4 op_sel_hi:[0,1]
	s_mov_b32 s22, 0xbb7bb3a8
	v_pk_add_f16 v32, v52, v32
	v_pk_fma_f16 v52, v41, s22, v51 op_sel_hi:[0,1,1]
	s_mov_b32 s4, 0xb9fd3b15
	v_pk_add_f16 v57, v1, v52 op_sel_hi:[0,1]
	v_pk_mul_f16 v52, v10, s4 op_sel_hi:[0,1]
	s_mov_b32 s23, 0x394e3770
	s_mov_b32 s4, 0x3b15b9fd
	v_pk_fma_f16 v10, v40, s23, v52 op_sel_hi:[0,1,1]
	v_pk_mul_f16 v53, v53, s4 op_sel_hi:[0,1]
	s_mov_b32 s24, 0x3770b94e
	s_mov_b32 s4, 0x2fb7388b
	v_pk_add_f16 v10, v10, v57
	v_pk_fma_f16 v57, v39, s24, v53 op_sel_hi:[0,1,1]
	v_pk_mul_f16 v54, v54, s4 op_sel_hi:[0,1]
	s_mov_b32 s25, 0xbbf13a95
	s_mov_b32 s4, 0xbbc4b5ac
	v_pk_add_f16 v10, v57, v10
	v_pk_fma_f16 v57, v38, s25, v54 op_sel_hi:[0,1,1]
	v_pk_mul_f16 v55, v55, s4 op_sel_hi:[0,1]
	s_mov_b32 s26, 0x33a8bb7b
	s_mov_b32 s4, 0x388b2fb7
	v_pk_add_f16 v10, v57, v10
	v_pk_fma_f16 v57, v43, s26, v55 op_sel_hi:[0,1,1]
	v_pk_mul_f16 v56, v56, s4 op_sel_hi:[0,1]
	s_mov_b32 s27, 0x3a953bf1
	v_pk_add_f16 v10, v57, v10
	v_pk_fma_f16 v57, v45, s27, v56 op_sel_hi:[0,1,1]
	v_pk_add_f16 v10, v57, v10
	s_waitcnt lgkmcnt(0)
	s_barrier
	s_and_saveexec_b64 s[4:5], s[0:1]
	s_cbranch_execz .LBB0_21
; %bb.20:
	v_add_f16_e32 v12, v1, v12
	v_pk_mul_f16 v57, v41, s6 op_sel_hi:[0,1]
	v_add_f16_e32 v12, v12, v14
	v_pk_mul_f16 v58, v40, s7 op_sel_hi:[0,1]
	v_add_f16_e32 v12, v12, v15
	v_pk_add_f16 v14, v33, v57 neg_lo:[0,1] neg_hi:[0,1]
	v_pk_mul_f16 v59, v39, s10 op_sel_hi:[0,1]
	v_add_f16_e32 v12, v12, v16
	v_add_f16_sdwa v15, v1, v14 dst_sel:DWORD dst_unused:UNUSED_PAD src0_sel:DWORD src1_sel:WORD_1
	v_add_f16_e32 v14, v1, v14
	v_pk_add_f16 v16, v34, v58 neg_lo:[0,1] neg_hi:[0,1]
	v_pk_mul_f16 v60, v38, s11 op_sel_hi:[0,1]
	v_add_f16_sdwa v15, v16, v15 dst_sel:DWORD dst_unused:UNUSED_PAD src0_sel:WORD_1 src1_sel:DWORD
	v_add_f16_e32 v14, v16, v14
	v_pk_add_f16 v16, v35, v59 neg_lo:[0,1] neg_hi:[0,1]
	v_pk_mul_f16 v61, v43, s14 op_sel_hi:[0,1]
	v_add_f16_sdwa v15, v16, v15 dst_sel:DWORD dst_unused:UNUSED_PAD src0_sel:WORD_1 src1_sel:DWORD
	;; [unrolled: 4-line block ×4, first 2 shown]
	v_add_f16_e32 v14, v16, v14
	v_pk_add_f16 v16, v42, v62 neg_lo:[0,1] neg_hi:[0,1]
	v_pk_mul_f16 v64, v40, s17 op_sel_hi:[0,1]
	v_add_f16_e32 v12, v12, v17
	v_add_f16_sdwa v15, v16, v15 dst_sel:DWORD dst_unused:UNUSED_PAD src0_sel:WORD_1 src1_sel:DWORD
	v_add_f16_e32 v14, v16, v14
	v_pk_add_f16 v16, v44, v63 neg_lo:[0,1] neg_hi:[0,1]
	v_pk_mul_f16 v65, v39, s18 op_sel_hi:[0,1]
	v_add_f16_e32 v12, v12, v18
	v_add_f16_e32 v17, v1, v16
	v_add_f16_sdwa v16, v1, v16 dst_sel:DWORD dst_unused:UNUSED_PAD src0_sel:DWORD src1_sel:WORD_1
	v_pk_add_f16 v18, v46, v64 neg_lo:[0,1] neg_hi:[0,1]
	v_pk_mul_f16 v66, v38, s19 op_sel_hi:[0,1]
	v_add_f16_e32 v17, v18, v17
	v_add_f16_sdwa v16, v18, v16 dst_sel:DWORD dst_unused:UNUSED_PAD src0_sel:WORD_1 src1_sel:DWORD
	v_pk_add_f16 v18, v47, v65 neg_lo:[0,1] neg_hi:[0,1]
	v_pk_mul_f16 v67, v43, s20 op_sel_hi:[0,1]
	v_add_f16_e32 v17, v18, v17
	v_add_f16_sdwa v16, v18, v16 dst_sel:DWORD dst_unused:UNUSED_PAD src0_sel:WORD_1 src1_sel:DWORD
	;; [unrolled: 4-line block ×5, first 2 shown]
	v_pk_add_f16 v18, v51, v41 neg_lo:[0,1] neg_hi:[0,1]
	v_pk_mul_f16 v39, v39, s24 op_sel_hi:[0,1]
	v_add_f16_e32 v12, v12, v19
	v_add_f16_sdwa v19, v1, v18 dst_sel:DWORD dst_unused:UNUSED_PAD src0_sel:DWORD src1_sel:WORD_1
	v_add_f16_e32 v1, v1, v18
	v_pk_add_f16 v18, v52, v40 neg_lo:[0,1] neg_hi:[0,1]
	v_pk_mul_f16 v38, v38, s25 op_sel_hi:[0,1]
	v_add_f16_sdwa v19, v18, v19 dst_sel:DWORD dst_unused:UNUSED_PAD src0_sel:WORD_1 src1_sel:DWORD
	v_add_f16_e32 v1, v18, v1
	v_pk_add_f16 v18, v53, v39 neg_lo:[0,1] neg_hi:[0,1]
	v_pk_mul_f16 v43, v43, s26 op_sel_hi:[0,1]
	v_add_f16_sdwa v19, v18, v19 dst_sel:DWORD dst_unused:UNUSED_PAD src0_sel:WORD_1 src1_sel:DWORD
	v_add_f16_e32 v1, v18, v1
	v_pk_add_f16 v18, v54, v38 neg_lo:[0,1] neg_hi:[0,1]
	v_pk_mul_f16 v45, v45, s27 op_sel_hi:[0,1]
	v_add_f16_e32 v12, v12, v20
	v_add_f16_sdwa v19, v18, v19 dst_sel:DWORD dst_unused:UNUSED_PAD src0_sel:WORD_1 src1_sel:DWORD
	v_add_f16_e32 v1, v18, v1
	v_pk_add_f16 v18, v55, v43 neg_lo:[0,1] neg_hi:[0,1]
	v_add_f16_e32 v12, v12, v21
	v_add_f16_sdwa v19, v18, v19 dst_sel:DWORD dst_unused:UNUSED_PAD src0_sel:WORD_1 src1_sel:DWORD
	v_add_f16_e32 v1, v18, v1
	v_pk_add_f16 v18, v56, v45 neg_lo:[0,1] neg_hi:[0,1]
	v_add_f16_e32 v12, v12, v22
	v_add_f16_sdwa v19, v18, v19 dst_sel:DWORD dst_unused:UNUSED_PAD src0_sel:WORD_1 src1_sel:DWORD
	v_add_f16_e32 v1, v18, v1
	v_mov_b32_e32 v18, 1
	v_add_f16_e32 v12, v12, v23
	v_mul_u32_u24_e32 v6, 0x104, v6
	v_lshlrev_b32_sdwa v7, v18, v7 dst_sel:DWORD dst_unused:UNUSED_PAD src0_sel:DWORD src1_sel:BYTE_0
	v_add_f16_e32 v12, v12, v24
	v_add3_u32 v6, 0, v6, v7
	ds_write_b16 v6, v12
	ds_write_b16 v6, v15 offset:20
	ds_write_b16 v6, v14 offset:40
	;; [unrolled: 1-line block ×7, first 2 shown]
	ds_write_b16_d16_hi v6, v32 offset:160
	ds_write_b16_d16_hi v6, v10 offset:180
	ds_write_b16 v6, v32 offset:200
	ds_write_b16 v6, v31 offset:220
	ds_write_b16_d16_hi v6, v31 offset:240
.LBB0_21:
	s_or_b64 exec, exec, s[4:5]
	s_waitcnt lgkmcnt(0)
	s_barrier
	ds_read_u16 v1, v4
	ds_read_u16 v7, v4 offset:520
	ds_read_u16 v12, v4 offset:1040
	;; [unrolled: 1-line block ×6, first 2 shown]
                                        ; implicit-def: $vgpr35
	s_and_saveexec_b64 s[0:1], s[2:3]
	s_cbranch_execz .LBB0_23
; %bb.22:
	ds_read_u16 v6, v4 offset:364
	ds_read_u16 v14, v4 offset:884
	;; [unrolled: 1-line block ×7, first 2 shown]
	s_mov_b32 s4, 0x5040100
	s_waitcnt lgkmcnt(4)
	v_perm_b32 v10, v10, v6, s4
	s_waitcnt lgkmcnt(2)
	v_perm_b32 v31, v20, v15, s4
	;; [unrolled: 2-line block ×3, first 2 shown]
.LBB0_23:
	s_or_b64 exec, exec, s[0:1]
	s_movk_i32 s0, 0x82
	v_add_u32_e32 v6, 0xffffff7e, v0
	v_cmp_gt_u32_e64 s[0:1], s0, v0
	v_cndmask_b32_e64 v45, v6, v0, s[0:1]
	v_mul_i32_i24_e32 v14, 6, v45
	v_mov_b32_e32 v15, 0
	v_lshlrev_b64 v[14:15], 2, v[14:15]
	v_mov_b32_e32 v6, s9
	v_add_co_u32_e64 v14, s[0:1], s8, v14
	v_addc_co_u32_e64 v15, s[0:1], v6, v15, s[0:1]
	v_add_u32_e32 v6, 0xb6, v0
	s_movk_i32 s0, 0xfc1
	global_load_dwordx4 v[20:23], v[14:15], off offset:480
	global_load_dwordx2 v[37:38], v[14:15], off offset:496
	v_mul_u32_u24_sdwa v14, v6, s0 dst_sel:DWORD dst_unused:UNUSED_PAD src0_sel:WORD_0 src1_sel:DWORD
	v_lshrrev_b32_e32 v14, 19, v14
	v_mul_lo_u16_e32 v14, 0x82, v14
	v_sub_u16_e32 v46, v6, v14
	v_mul_u32_u24_e32 v6, 6, v46
	v_lshlrev_b32_e32 v6, 2, v6
	global_load_dwordx4 v[39:42], v6, s[8:9] offset:480
	global_load_dwordx2 v[43:44], v6, s[8:9] offset:496
	v_lshrrev_b32_e32 v47, 16, v32
	v_lshrrev_b32_e32 v51, 16, v31
	;; [unrolled: 1-line block ×6, first 2 shown]
	s_movk_i32 s5, 0x2b26
	s_mov_b32 s4, 0xbb00
	s_mov_b32 s6, 0xbcab
	s_movk_i32 s7, 0x39e0
	s_mov_b32 s10, 0xb9e0
	s_mov_b32 s11, 0xb574
	s_movk_i32 s15, 0x3574
	s_mov_b32 s14, 0xb70e
	s_movk_i32 s0, 0x81
	v_cmp_lt_u32_e64 s[0:1], s0, v0
	s_waitcnt vmcnt(0) lgkmcnt(0)
	s_barrier
	v_mul_f16_sdwa v6, v7, v20 dst_sel:DWORD dst_unused:UNUSED_PAD src0_sel:DWORD src1_sel:WORD_1
	v_mul_f16_sdwa v14, v30, v20 dst_sel:DWORD dst_unused:UNUSED_PAD src0_sel:DWORD src1_sel:WORD_1
	;; [unrolled: 1-line block ×12, first 2 shown]
	v_fma_f16 v6, v30, v20, v6
	v_fma_f16 v14, v7, v20, -v14
	v_fma_f16 v7, v29, v21, v15
	v_fma_f16 v15, v12, v21, -v33
	;; [unrolled: 2-line block ×5, first 2 shown]
	v_mul_f16_sdwa v16, v47, v39 dst_sel:DWORD dst_unused:UNUSED_PAD src0_sel:DWORD src1_sel:WORD_1
	v_mul_f16_sdwa v26, v51, v43 dst_sel:DWORD dst_unused:UNUSED_PAD src0_sel:DWORD src1_sel:WORD_1
	;; [unrolled: 1-line block ×3, first 2 shown]
	v_fma_f16 v30, v27, v23, v52
	v_fma_f16 v33, v18, v23, -v53
	v_mul_f16_sdwa v17, v24, v39 dst_sel:DWORD dst_unused:UNUSED_PAD src0_sel:DWORD src1_sel:WORD_1
	v_mul_f16_sdwa v18, v48, v40 dst_sel:DWORD dst_unused:UNUSED_PAD src0_sel:DWORD src1_sel:WORD_1
	;; [unrolled: 1-line block ×8, first 2 shown]
	v_fma_f16 v16, v24, v39, v16
	v_fma_f16 v24, v8, v43, v26
	;; [unrolled: 1-line block ×3, first 2 shown]
	v_add_f16_e32 v8, v6, v37
	v_add_f16_e32 v13, v7, v34
	v_mul_f16_sdwa v20, v9, v40 dst_sel:DWORD dst_unused:UNUSED_PAD src0_sel:DWORD src1_sel:WORD_1
	v_fma_f16 v19, v47, v39, -v17
	v_fma_f16 v17, v9, v40, v18
	v_fma_f16 v18, v49, v41, v21
	v_fma_f16 v21, v32, v41, -v22
	v_fma_f16 v22, v50, v42, v23
	v_fma_f16 v23, v31, v42, -v25
	v_fma_f16 v25, v51, v43, -v27
	v_fma_f16 v27, v35, v44, -v52
	v_sub_f16_e32 v9, v14, v38
	v_sub_f16_e32 v28, v15, v36
	v_add_f16_e32 v31, v12, v30
	v_sub_f16_e32 v32, v33, v29
	v_add_f16_e32 v35, v13, v8
	v_fma_f16 v20, v48, v40, -v20
	v_sub_f16_e32 v39, v13, v8
	v_sub_f16_e32 v8, v8, v31
	;; [unrolled: 1-line block ×3, first 2 shown]
	v_add_f16_e32 v40, v32, v28
	v_sub_f16_e32 v41, v32, v28
	v_sub_f16_e32 v28, v28, v9
	v_add_f16_e32 v31, v31, v35
	v_sub_f16_e32 v32, v9, v32
	v_add_f16_e32 v9, v40, v9
	v_add_f16_e32 v11, v11, v31
	v_mul_f16_e32 v8, 0x3a52, v8
	v_mul_f16_e32 v35, 0x2b26, v13
	;; [unrolled: 1-line block ×4, first 2 shown]
	v_fma_f16 v31, v31, s6, v11
	v_fma_f16 v13, v13, s5, v8
	v_fma_f16 v35, v39, s7, -v35
	v_fma_f16 v8, v39, s10, -v8
	v_fma_f16 v39, v32, s11, v40
	v_fma_f16 v28, v28, s4, -v40
	v_fma_f16 v32, v32, s15, -v41
	v_add_f16_e32 v13, v13, v31
	v_add_f16_e32 v35, v35, v31
	;; [unrolled: 1-line block ×3, first 2 shown]
	v_fma_f16 v31, v9, s14, v39
	v_fma_f16 v28, v9, s14, v28
	;; [unrolled: 1-line block ×3, first 2 shown]
	v_add_f16_e32 v32, v31, v13
	v_add_f16_e32 v39, v9, v8
	v_sub_f16_e32 v8, v8, v9
	v_sub_f16_e32 v9, v13, v31
	v_mov_b32_e32 v13, 0x71c
	v_cndmask_b32_e64 v13, 0, v13, s[0:1]
	v_lshlrev_b32_e32 v31, 1, v45
	v_sub_f16_e32 v40, v35, v28
	v_add_f16_e32 v28, v28, v35
	v_add3_u32 v31, 0, v13, v31
	ds_write_b16 v31, v11
	ds_write_b16 v31, v32 offset:260
	ds_write_b16 v31, v39 offset:520
	;; [unrolled: 1-line block ×6, first 2 shown]
	v_lshl_add_u32 v28, v46, 1, 0
	s_and_saveexec_b64 s[0:1], s[2:3]
	s_cbranch_execz .LBB0_25
; %bb.24:
	v_add_f16_e32 v8, v16, v26
	v_add_f16_e32 v13, v17, v24
	;; [unrolled: 1-line block ×4, first 2 shown]
	v_sub_f16_e32 v11, v8, v9
	v_sub_f16_e32 v32, v9, v13
	v_add_f16_e32 v9, v9, v39
	v_sub_f16_e32 v39, v19, v27
	v_sub_f16_e32 v40, v23, v21
	;; [unrolled: 1-line block ×5, first 2 shown]
	v_add_f16_e32 v40, v40, v42
	v_sub_f16_e32 v8, v13, v8
	v_sub_f16_e32 v13, v42, v39
	v_mul_f16_e32 v11, 0x3a52, v11
	v_mul_f16_e32 v35, 0x2b26, v32
	v_add_f16_e32 v5, v5, v9
	v_mul_f16_e32 v43, 0x3846, v43
	v_add_f16_e32 v40, v40, v39
	v_mul_f16_e32 v39, 0xbb00, v13
	v_fma_f16 v32, v32, s5, v11
	v_fma_f16 v9, v9, s6, v5
	;; [unrolled: 1-line block ×3, first 2 shown]
	v_fma_f16 v11, v8, s10, -v11
	v_fma_f16 v39, v41, s15, -v39
	;; [unrolled: 1-line block ×4, first 2 shown]
	v_add_f16_e32 v32, v32, v9
	v_fma_f16 v44, v40, s14, v44
	v_add_f16_e32 v11, v11, v9
	v_fma_f16 v39, v40, s14, v39
	v_fma_f16 v13, v40, s14, v13
	v_add_f16_e32 v8, v8, v9
	v_sub_f16_e32 v45, v32, v44
	v_sub_f16_e32 v41, v11, v39
	v_add_f16_e32 v9, v13, v8
	v_sub_f16_e32 v8, v8, v13
	v_add_f16_e32 v11, v39, v11
	v_add_f16_e32 v13, v44, v32
	ds_write_b16 v28, v5 offset:1820
	ds_write_b16 v28, v13 offset:2080
	;; [unrolled: 1-line block ×7, first 2 shown]
.LBB0_25:
	s_or_b64 exec, exec, s[0:1]
	v_add_f16_e32 v5, v14, v38
	v_add_f16_e32 v8, v15, v36
	v_sub_f16_e32 v6, v6, v37
	v_sub_f16_e32 v7, v7, v34
	v_add_f16_e32 v9, v29, v33
	v_sub_f16_e32 v11, v30, v12
	v_add_f16_e32 v12, v8, v5
	v_sub_f16_e32 v13, v8, v5
	v_sub_f16_e32 v5, v5, v9
	;; [unrolled: 1-line block ×3, first 2 shown]
	v_add_f16_e32 v14, v11, v7
	v_sub_f16_e32 v15, v11, v7
	v_sub_f16_e32 v7, v7, v6
	v_add_f16_e32 v9, v9, v12
	v_sub_f16_e32 v11, v6, v11
	v_add_f16_e32 v6, v14, v6
	v_add_f16_e32 v1, v1, v9
	v_mul_f16_e32 v5, 0x3a52, v5
	v_mul_f16_e32 v12, 0x2b26, v8
	;; [unrolled: 1-line block ×4, first 2 shown]
	v_fma_f16 v9, v9, s6, v1
	v_fma_f16 v8, v8, s5, v5
	v_fma_f16 v12, v13, s7, -v12
	v_fma_f16 v5, v13, s10, -v5
	v_fma_f16 v13, v11, s11, v14
	v_fma_f16 v7, v7, s4, -v14
	v_fma_f16 v11, v11, s15, -v15
	v_add_f16_e32 v8, v8, v9
	v_add_f16_e32 v12, v12, v9
	;; [unrolled: 1-line block ×3, first 2 shown]
	v_fma_f16 v9, v6, s14, v13
	v_fma_f16 v7, v6, s14, v7
	;; [unrolled: 1-line block ×3, first 2 shown]
	v_sub_f16_e32 v29, v8, v9
	v_sub_f16_e32 v30, v5, v6
	v_add_f16_e32 v32, v7, v12
	v_sub_f16_e32 v33, v12, v7
	v_add_f16_e32 v34, v6, v5
	v_add_f16_e32 v35, v9, v8
	s_waitcnt lgkmcnt(0)
	s_barrier
	ds_read_u16 v11, v4 offset:2184
	ds_read_u16 v12, v4 offset:2548
	ds_read_u16 v5, v4
	ds_read_u16 v6, v4 offset:364
	ds_read_u16 v7, v4 offset:728
	ds_read_u16 v8, v4 offset:1092
	ds_read_u16 v13, v4 offset:1820
	ds_read_u16 v9, v4 offset:1456
	ds_read_u16 v14, v4 offset:2912
	ds_read_u16 v15, v4 offset:3276
	s_waitcnt lgkmcnt(0)
	s_barrier
	ds_write_b16 v31, v1
	ds_write_b16 v31, v29 offset:260
	ds_write_b16 v31, v30 offset:520
	;; [unrolled: 1-line block ×6, first 2 shown]
	s_and_saveexec_b64 s[0:1], s[2:3]
	s_cbranch_execz .LBB0_27
; %bb.26:
	v_add_f16_e32 v1, v19, v27
	v_add_f16_e32 v19, v20, v25
	;; [unrolled: 1-line block ×3, first 2 shown]
	v_sub_f16_e32 v18, v22, v18
	v_add_f16_e32 v21, v19, v1
	v_sub_f16_e32 v22, v19, v1
	v_sub_f16_e32 v1, v1, v20
	v_sub_f16_e32 v19, v20, v19
	v_mul_f16_e32 v1, 0x3a52, v1
	s_movk_i32 s2, 0x2b26
	v_sub_f16_e32 v17, v17, v24
	v_add_f16_e32 v20, v20, v21
	v_mul_f16_e32 v21, 0x2b26, v19
	v_fma_f16 v19, v19, s2, v1
	s_movk_i32 s2, 0x39e0
	v_sub_f16_e32 v16, v16, v26
	v_add_f16_e32 v23, v18, v17
	v_sub_f16_e32 v24, v18, v17
	v_fma_f16 v21, v22, s2, -v21
	s_mov_b32 s2, 0xb9e0
	v_sub_f16_e32 v18, v16, v18
	v_sub_f16_e32 v17, v17, v16
	v_add_f16_e32 v16, v23, v16
	v_mul_f16_e32 v23, 0x3846, v24
	v_fma_f16 v1, v22, s2, -v1
	s_mov_b32 s2, 0xb574
	v_add_f16_e32 v10, v10, v20
	s_mov_b32 s3, 0xbb00
	v_mul_f16_e32 v24, 0xbb00, v17
	s_mov_b32 s4, 0xbcab
	v_fma_f16 v22, v18, s2, v23
	s_movk_i32 s2, 0x3574
	v_fma_f16 v20, v20, s4, v10
	v_fma_f16 v17, v17, s3, -v23
	v_fma_f16 v18, v18, s2, -v24
	s_mov_b32 s2, 0xb70e
	v_add_f16_e32 v19, v19, v20
	v_add_f16_e32 v21, v21, v20
	;; [unrolled: 1-line block ×3, first 2 shown]
	v_fma_f16 v20, v16, s2, v22
	v_fma_f16 v17, v16, s2, v17
	;; [unrolled: 1-line block ×3, first 2 shown]
	v_sub_f16_e32 v18, v19, v20
	v_sub_f16_e32 v22, v1, v16
	v_add_f16_e32 v23, v17, v21
	v_sub_f16_e32 v17, v21, v17
	v_add_f16_e32 v1, v16, v1
	v_add_f16_e32 v16, v20, v19
	ds_write_b16 v28, v10 offset:1820
	ds_write_b16 v28, v18 offset:2080
	;; [unrolled: 1-line block ×7, first 2 shown]
.LBB0_27:
	s_or_b64 exec, exec, s[0:1]
	s_waitcnt lgkmcnt(0)
	s_barrier
	s_and_saveexec_b64 s[0:1], vcc
	s_cbranch_execz .LBB0_29
; %bb.28:
	v_mov_b32_e32 v1, 0
	v_lshlrev_b64 v[16:17], 2, v[0:1]
	v_mov_b32_e32 v10, s9
	v_add_co_u32_e32 v18, vcc, s8, v16
	v_addc_co_u32_e32 v19, vcc, v10, v17, vcc
	v_add_co_u32_e32 v20, vcc, 0x1000, v18
	v_addc_co_u32_e32 v21, vcc, 0, v19, vcc
	global_load_dword v10, v[20:21], off offset:2416
	global_load_dword v22, v[20:21], off offset:1688
	;; [unrolled: 1-line block ×5, first 2 shown]
	v_mov_b32_e32 v31, s13
	v_add_co_u32_e32 v2, vcc, s12, v2
	ds_read_u16 v18, v4 offset:3276
	ds_read_u16 v19, v4 offset:2912
	;; [unrolled: 1-line block ×9, first 2 shown]
	ds_read_u16 v4, v4
	v_addc_co_u32_e32 v3, vcc, v31, v3, vcc
	v_add_u32_e32 v32, 0x16c, v0
	v_add_co_u32_e32 v2, vcc, v2, v16
	v_lshrrev_b32_e32 v31, 1, v32
	v_addc_co_u32_e32 v3, vcc, v3, v17, vcc
	s_mov_b32 s1, 0x90090091
	v_mul_hi_u32 v31, v31, s1
	s_movk_i32 s0, 0x1000
	s_waitcnt vmcnt(4)
	v_lshrrev_b32_e32 v16, 16, v10
	v_mul_f16_e32 v17, v15, v10
	s_waitcnt vmcnt(3)
	v_lshrrev_b32_e32 v32, 16, v22
	v_mul_f16_e32 v33, v14, v22
	;; [unrolled: 3-line block ×3, first 2 shown]
	s_waitcnt vmcnt(1)
	v_lshrrev_b32_e32 v36, 16, v24
	s_waitcnt vmcnt(0)
	v_lshrrev_b32_e32 v38, 16, v25
	v_mul_f16_e32 v37, v11, v24
	v_mul_f16_e32 v39, v13, v25
	s_waitcnt lgkmcnt(9)
	v_fma_f16 v17, v18, v16, v17
	v_mul_f16_e32 v15, v15, v16
	s_waitcnt lgkmcnt(8)
	v_fma_f16 v16, v19, v32, v33
	;; [unrolled: 3-line block ×3, first 2 shown]
	v_mul_f16_e32 v11, v11, v36
	v_mul_f16_e32 v13, v13, v38
	;; [unrolled: 1-line block ×3, first 2 shown]
	s_waitcnt lgkmcnt(5)
	v_fma_f16 v34, v26, v38, v39
	v_fma_f16 v10, v18, v10, -v15
	v_sub_f16_e32 v15, v8, v16
	v_sub_f16_e32 v16, v7, v32
	v_fma_f16 v11, v21, v24, -v11
	v_fma_f16 v13, v26, v25, -v13
	v_fma_f16 v33, v21, v36, v37
	v_fma_f16 v14, v19, v22, -v14
	v_fma_f16 v12, v20, v23, -v12
	v_sub_f16_e32 v19, v5, v34
	v_fma_f16 v20, v7, 2.0, -v16
	s_waitcnt lgkmcnt(1)
	v_sub_f16_e32 v7, v30, v11
	s_waitcnt lgkmcnt(0)
	v_sub_f16_e32 v11, v4, v13
	v_sub_f16_e32 v18, v6, v33
	v_fma_f16 v5, v5, 2.0, -v19
	v_fma_f16 v4, v4, 2.0, -v11
	;; [unrolled: 1-line block ×4, first 2 shown]
	v_pack_b32_f16 v11, v19, v11
	v_pack_b32_f16 v4, v5, v4
	global_store_dword v[2:3], v11, off offset:3640
	v_pack_b32_f16 v5, v6, v23
	global_store_dword v[2:3], v4, off
	global_store_dword v[2:3], v5, off offset:728
	v_add_co_u32_e32 v4, vcc, s0, v2
	v_pack_b32_f16 v7, v18, v7
	v_addc_co_u32_e32 v5, vcc, 0, v3, vcc
	global_store_dword v[4:5], v7, off offset:272
	v_lshrrev_b32_e32 v4, 8, v31
	v_mul_u32_u24_e32 v4, 0x38e, v4
	v_mov_b32_e32 v5, v1
	v_lshlrev_b64 v[4:5], 2, v[4:5]
	v_add_u32_e32 v18, 0x222, v0
	v_lshrrev_b32_e32 v18, 1, v18
	v_sub_f16_e32 v12, v29, v12
	v_add_co_u32_e32 v4, vcc, v2, v4
	v_mul_hi_u32 v18, v18, s1
	v_fma_f16 v22, v29, 2.0, -v12
	v_addc_co_u32_e32 v5, vcc, v3, v5, vcc
	s_movk_i32 s0, 0x5b0
	v_add_co_u32_e32 v6, vcc, s0, v4
	v_pack_b32_f16 v11, v20, v22
	v_add_u32_e32 v0, 0x2d8, v0
	v_addc_co_u32_e32 v7, vcc, 0, v5, vcc
	global_store_dword v[4:5], v11, off offset:1456
	v_pack_b32_f16 v4, v16, v12
	v_lshrrev_b32_e32 v0, 1, v0
	global_store_dword v[6:7], v4, off offset:3640
	v_lshrrev_b32_e32 v4, 8, v18
	v_mul_hi_u32 v0, v0, s1
	v_mul_u32_u24_e32 v4, 0x38e, v4
	v_mov_b32_e32 v5, v1
	v_lshlrev_b64 v[4:5], 2, v[4:5]
	v_lshrrev_b32_e32 v0, 8, v0
	v_add_co_u32_e32 v4, vcc, v2, v4
	v_addc_co_u32_e32 v5, vcc, v3, v5, vcc
	s_movk_i32 s0, 0x888
	v_mul_u32_u24_e32 v0, 0x38e, v0
	v_sub_f16_e32 v14, v28, v14
	v_add_co_u32_e32 v6, vcc, s0, v4
	v_lshlrev_b64 v[0:1], 2, v[0:1]
	v_fma_f16 v8, v8, 2.0, -v15
	v_fma_f16 v21, v28, 2.0, -v14
	v_addc_co_u32_e32 v7, vcc, 0, v5, vcc
	v_sub_f16_e32 v17, v9, v17
	v_sub_f16_e32 v10, v27, v10
	v_pack_b32_f16 v8, v8, v21
	v_add_co_u32_e32 v0, vcc, v2, v0
	v_fma_f16 v9, v9, 2.0, -v17
	v_fma_f16 v13, v27, 2.0, -v10
	global_store_dword v[4:5], v8, off offset:2184
	v_pack_b32_f16 v4, v15, v14
	v_addc_co_u32_e32 v1, vcc, v3, v1, vcc
	global_store_dword v[6:7], v4, off offset:3640
	v_add_co_u32_e32 v2, vcc, 0xb60, v0
	v_pack_b32_f16 v4, v9, v13
	v_addc_co_u32_e32 v3, vcc, 0, v1, vcc
	global_store_dword v[0:1], v4, off offset:2912
	v_pack_b32_f16 v0, v17, v10
	global_store_dword v[2:3], v0, off offset:3640
.LBB0_29:
	s_endpgm
	.section	.rodata,"a",@progbits
	.p2align	6, 0x0
	.amdhsa_kernel fft_rtc_back_len1820_factors_10_13_7_2_wgs_182_tpt_182_halfLds_half_ip_CI_unitstride_sbrr_dirReg
		.amdhsa_group_segment_fixed_size 0
		.amdhsa_private_segment_fixed_size 0
		.amdhsa_kernarg_size 88
		.amdhsa_user_sgpr_count 6
		.amdhsa_user_sgpr_private_segment_buffer 1
		.amdhsa_user_sgpr_dispatch_ptr 0
		.amdhsa_user_sgpr_queue_ptr 0
		.amdhsa_user_sgpr_kernarg_segment_ptr 1
		.amdhsa_user_sgpr_dispatch_id 0
		.amdhsa_user_sgpr_flat_scratch_init 0
		.amdhsa_user_sgpr_private_segment_size 0
		.amdhsa_uses_dynamic_stack 0
		.amdhsa_system_sgpr_private_segment_wavefront_offset 0
		.amdhsa_system_sgpr_workgroup_id_x 1
		.amdhsa_system_sgpr_workgroup_id_y 0
		.amdhsa_system_sgpr_workgroup_id_z 0
		.amdhsa_system_sgpr_workgroup_info 0
		.amdhsa_system_vgpr_workitem_id 0
		.amdhsa_next_free_vgpr 69
		.amdhsa_next_free_sgpr 28
		.amdhsa_reserve_vcc 1
		.amdhsa_reserve_flat_scratch 0
		.amdhsa_float_round_mode_32 0
		.amdhsa_float_round_mode_16_64 0
		.amdhsa_float_denorm_mode_32 3
		.amdhsa_float_denorm_mode_16_64 3
		.amdhsa_dx10_clamp 1
		.amdhsa_ieee_mode 1
		.amdhsa_fp16_overflow 0
		.amdhsa_exception_fp_ieee_invalid_op 0
		.amdhsa_exception_fp_denorm_src 0
		.amdhsa_exception_fp_ieee_div_zero 0
		.amdhsa_exception_fp_ieee_overflow 0
		.amdhsa_exception_fp_ieee_underflow 0
		.amdhsa_exception_fp_ieee_inexact 0
		.amdhsa_exception_int_div_zero 0
	.end_amdhsa_kernel
	.text
.Lfunc_end0:
	.size	fft_rtc_back_len1820_factors_10_13_7_2_wgs_182_tpt_182_halfLds_half_ip_CI_unitstride_sbrr_dirReg, .Lfunc_end0-fft_rtc_back_len1820_factors_10_13_7_2_wgs_182_tpt_182_halfLds_half_ip_CI_unitstride_sbrr_dirReg
                                        ; -- End function
	.section	.AMDGPU.csdata,"",@progbits
; Kernel info:
; codeLenInByte = 9152
; NumSgprs: 32
; NumVgprs: 69
; ScratchSize: 0
; MemoryBound: 0
; FloatMode: 240
; IeeeMode: 1
; LDSByteSize: 0 bytes/workgroup (compile time only)
; SGPRBlocks: 3
; VGPRBlocks: 17
; NumSGPRsForWavesPerEU: 32
; NumVGPRsForWavesPerEU: 69
; Occupancy: 3
; WaveLimiterHint : 1
; COMPUTE_PGM_RSRC2:SCRATCH_EN: 0
; COMPUTE_PGM_RSRC2:USER_SGPR: 6
; COMPUTE_PGM_RSRC2:TRAP_HANDLER: 0
; COMPUTE_PGM_RSRC2:TGID_X_EN: 1
; COMPUTE_PGM_RSRC2:TGID_Y_EN: 0
; COMPUTE_PGM_RSRC2:TGID_Z_EN: 0
; COMPUTE_PGM_RSRC2:TIDIG_COMP_CNT: 0
	.type	__hip_cuid_887c7bb4f296a839,@object ; @__hip_cuid_887c7bb4f296a839
	.section	.bss,"aw",@nobits
	.globl	__hip_cuid_887c7bb4f296a839
__hip_cuid_887c7bb4f296a839:
	.byte	0                               ; 0x0
	.size	__hip_cuid_887c7bb4f296a839, 1

	.ident	"AMD clang version 19.0.0git (https://github.com/RadeonOpenCompute/llvm-project roc-6.4.0 25133 c7fe45cf4b819c5991fe208aaa96edf142730f1d)"
	.section	".note.GNU-stack","",@progbits
	.addrsig
	.addrsig_sym __hip_cuid_887c7bb4f296a839
	.amdgpu_metadata
---
amdhsa.kernels:
  - .args:
      - .actual_access:  read_only
        .address_space:  global
        .offset:         0
        .size:           8
        .value_kind:     global_buffer
      - .offset:         8
        .size:           8
        .value_kind:     by_value
      - .actual_access:  read_only
        .address_space:  global
        .offset:         16
        .size:           8
        .value_kind:     global_buffer
      - .actual_access:  read_only
        .address_space:  global
        .offset:         24
        .size:           8
        .value_kind:     global_buffer
      - .offset:         32
        .size:           8
        .value_kind:     by_value
      - .actual_access:  read_only
        .address_space:  global
        .offset:         40
        .size:           8
        .value_kind:     global_buffer
      - .actual_access:  read_only
        .address_space:  global
        .offset:         48
        .size:           8
        .value_kind:     global_buffer
      - .offset:         56
        .size:           4
        .value_kind:     by_value
      - .actual_access:  read_only
        .address_space:  global
        .offset:         64
        .size:           8
        .value_kind:     global_buffer
      - .actual_access:  read_only
        .address_space:  global
        .offset:         72
        .size:           8
        .value_kind:     global_buffer
      - .address_space:  global
        .offset:         80
        .size:           8
        .value_kind:     global_buffer
    .group_segment_fixed_size: 0
    .kernarg_segment_align: 8
    .kernarg_segment_size: 88
    .language:       OpenCL C
    .language_version:
      - 2
      - 0
    .max_flat_workgroup_size: 182
    .name:           fft_rtc_back_len1820_factors_10_13_7_2_wgs_182_tpt_182_halfLds_half_ip_CI_unitstride_sbrr_dirReg
    .private_segment_fixed_size: 0
    .sgpr_count:     32
    .sgpr_spill_count: 0
    .symbol:         fft_rtc_back_len1820_factors_10_13_7_2_wgs_182_tpt_182_halfLds_half_ip_CI_unitstride_sbrr_dirReg.kd
    .uniform_work_group_size: 1
    .uses_dynamic_stack: false
    .vgpr_count:     69
    .vgpr_spill_count: 0
    .wavefront_size: 64
amdhsa.target:   amdgcn-amd-amdhsa--gfx906
amdhsa.version:
  - 1
  - 2
...

	.end_amdgpu_metadata
